;; amdgpu-corpus repo=ROCm/rocFFT kind=compiled arch=gfx1201 opt=O3
	.text
	.amdgcn_target "amdgcn-amd-amdhsa--gfx1201"
	.amdhsa_code_object_version 6
	.protected	fft_rtc_back_len192_factors_4_4_3_4_wgs_256_tpt_16_halfLds_dim2_sp_ip_CI_sbcc_twdbase8_2step_dirReg_intrinsicReadWrite ; -- Begin function fft_rtc_back_len192_factors_4_4_3_4_wgs_256_tpt_16_halfLds_dim2_sp_ip_CI_sbcc_twdbase8_2step_dirReg_intrinsicReadWrite
	.globl	fft_rtc_back_len192_factors_4_4_3_4_wgs_256_tpt_16_halfLds_dim2_sp_ip_CI_sbcc_twdbase8_2step_dirReg_intrinsicReadWrite
	.p2align	8
	.type	fft_rtc_back_len192_factors_4_4_3_4_wgs_256_tpt_16_halfLds_dim2_sp_ip_CI_sbcc_twdbase8_2step_dirReg_intrinsicReadWrite,@function
fft_rtc_back_len192_factors_4_4_3_4_wgs_256_tpt_16_halfLds_dim2_sp_ip_CI_sbcc_twdbase8_2step_dirReg_intrinsicReadWrite: ; @fft_rtc_back_len192_factors_4_4_3_4_wgs_256_tpt_16_halfLds_dim2_sp_ip_CI_sbcc_twdbase8_2step_dirReg_intrinsicReadWrite
; %bb.0:
	s_load_b128 s[4:7], s[0:1], 0x10
	s_mov_b32 s10, ttmp9
	s_mov_b32 s11, 0
	s_mov_b64 s[14:15], 0
	s_wait_kmcnt 0x0
	s_load_b64 s[8:9], s[4:5], 0x8
	s_load_b64 s[2:3], s[0:1], 0x50
	;; [unrolled: 1-line block ×3, first 2 shown]
	s_wait_kmcnt 0x0
	s_add_nc_u64 s[12:13], s[8:9], -1
	s_delay_alu instid0(SALU_CYCLE_1) | instskip(NEXT) | instid1(SALU_CYCLE_1)
	s_lshr_b64 s[12:13], s[12:13], 4
	s_add_nc_u64 s[12:13], s[12:13], 1
	s_delay_alu instid0(SALU_CYCLE_1) | instskip(NEXT) | instid1(VALU_DEP_1)
	v_cmp_lt_u64_e64 s5, s[10:11], s[12:13]
	s_and_b32 vcc_lo, exec_lo, s5
	s_cbranch_vccnz .LBB0_2
; %bb.1:
	v_cvt_f32_u32_e32 v1, s12
	s_sub_co_i32 s14, 0, s12
	s_delay_alu instid0(VALU_DEP_1) | instskip(NEXT) | instid1(TRANS32_DEP_1)
	v_rcp_iflag_f32_e32 v1, v1
	v_mul_f32_e32 v1, 0x4f7ffffe, v1
	s_delay_alu instid0(VALU_DEP_1) | instskip(NEXT) | instid1(VALU_DEP_1)
	v_cvt_u32_f32_e32 v1, v1
	v_readfirstlane_b32 s5, v1
	s_delay_alu instid0(VALU_DEP_1) | instskip(NEXT) | instid1(SALU_CYCLE_1)
	s_mul_i32 s14, s14, s5
	s_mul_hi_u32 s14, s5, s14
	s_delay_alu instid0(SALU_CYCLE_1) | instskip(NEXT) | instid1(SALU_CYCLE_1)
	s_add_co_i32 s5, s5, s14
	s_mul_hi_u32 s5, s10, s5
	s_delay_alu instid0(SALU_CYCLE_1) | instskip(SKIP_2) | instid1(SALU_CYCLE_1)
	s_mul_i32 s14, s5, s12
	s_add_co_i32 s15, s5, 1
	s_sub_co_i32 s14, s10, s14
	s_sub_co_i32 s16, s14, s12
	s_cmp_ge_u32 s14, s12
	s_cselect_b32 s5, s15, s5
	s_cselect_b32 s14, s16, s14
	s_add_co_i32 s15, s5, 1
	s_cmp_ge_u32 s14, s12
	s_cselect_b32 s14, s15, s5
	s_mov_b32 s15, s11
.LBB0_2:
	s_load_b128 s[16:19], s[6:7], 0x8
	s_mul_u64 s[6:7], s[14:15], s[12:13]
	v_lshrrev_b32_e32 v29, 4, v0
	s_sub_nc_u64 s[6:7], s[10:11], s[6:7]
	v_mov_b32_e32 v7, 0
	s_lshl_b64 s[6:7], s[6:7], 4
	s_delay_alu instid0(SALU_CYCLE_1) | instskip(SKIP_3) | instid1(VALU_DEP_2)
	v_dual_mov_b32 v4, s7 :: v_dual_and_b32 v31, 15, v0
	s_add_nc_u64 s[10:11], s[6:7], 16
	s_wait_alu 0xfffe
	v_cmp_le_u64_e64 s5, s[10:11], s[8:9]
	v_or_b32_e32 v3, s6, v31
	s_delay_alu instid0(VALU_DEP_1)
	v_cmp_gt_u64_e32 vcc_lo, s[8:9], v[3:4]
	s_wait_kmcnt 0x0
	v_mad_co_u64_u32 v[1:2], null, s16, v31, 0
	s_mul_u64 s[6:7], s[6:7], s[16:17]
	s_mul_u64 s[10:11], s[18:19], s[14:15]
	s_or_b32 s5, s5, vcc_lo
	s_wait_alu 0xfffe
	s_add_nc_u64 s[6:7], s[10:11], s[6:7]
	s_delay_alu instid0(VALU_DEP_1)
	v_mad_co_u64_u32 v[5:6], null, s17, v31, v[2:3]
	v_dual_mov_b32 v5, 0 :: v_dual_mov_b32 v6, 0
	s_and_saveexec_b32 s7, s5
	s_cbranch_execz .LBB0_4
; %bb.3:
	v_mul_lo_u32 v2, s4, v29
	v_mov_b32_e32 v7, 0
	s_wait_alu 0xfffe
	s_delay_alu instid0(VALU_DEP_2) | instskip(NEXT) | instid1(VALU_DEP_1)
	v_add3_u32 v6, s6, v1, v2
	v_lshlrev_b64_e32 v[6:7], 3, v[6:7]
	s_delay_alu instid0(VALU_DEP_1) | instskip(NEXT) | instid1(VALU_DEP_2)
	v_add_co_u32 v6, vcc_lo, s2, v6
	v_add_co_ci_u32_e32 v7, vcc_lo, s3, v7, vcc_lo
	global_load_b64 v[6:7], v[6:7], off
.LBB0_4:
	s_wait_alu 0xfffe
	s_or_b32 exec_lo, exec_lo, s7
	v_add_nc_u32_e32 v30, 48, v29
	v_mov_b32_e32 v4, 0
	s_and_saveexec_b32 s7, s5
	s_cbranch_execz .LBB0_6
; %bb.5:
	s_delay_alu instid0(VALU_DEP_2) | instskip(SKIP_1) | instid1(VALU_DEP_2)
	v_mul_lo_u32 v2, s4, v30
	v_mov_b32_e32 v5, 0
	v_add3_u32 v4, s6, v1, v2
	s_delay_alu instid0(VALU_DEP_1) | instskip(NEXT) | instid1(VALU_DEP_1)
	v_lshlrev_b64_e32 v[4:5], 3, v[4:5]
	v_add_co_u32 v4, vcc_lo, s2, v4
	s_wait_alu 0xfffd
	s_delay_alu instid0(VALU_DEP_2)
	v_add_co_ci_u32_e32 v5, vcc_lo, s3, v5, vcc_lo
	global_load_b64 v[4:5], v[4:5], off
.LBB0_6:
	s_wait_alu 0xfffe
	s_or_b32 exec_lo, exec_lo, s7
	v_dual_mov_b32 v9, 0 :: v_dual_mov_b32 v10, 0
	v_mov_b32_e32 v11, 0
	s_and_saveexec_b32 s7, s5
	s_cbranch_execz .LBB0_8
; %bb.7:
	v_dual_mov_b32 v11, 0 :: v_dual_add_nc_u32 v2, 0x60, v29
	s_delay_alu instid0(VALU_DEP_1) | instskip(NEXT) | instid1(VALU_DEP_1)
	v_mul_lo_u32 v2, s4, v2
	v_add3_u32 v10, s6, v1, v2
	s_delay_alu instid0(VALU_DEP_1) | instskip(NEXT) | instid1(VALU_DEP_1)
	v_lshlrev_b64_e32 v[10:11], 3, v[10:11]
	v_add_co_u32 v10, vcc_lo, s2, v10
	s_wait_alu 0xfffd
	s_delay_alu instid0(VALU_DEP_2)
	v_add_co_ci_u32_e32 v11, vcc_lo, s3, v11, vcc_lo
	global_load_b64 v[10:11], v[10:11], off
.LBB0_8:
	s_wait_alu 0xfffe
	s_or_b32 exec_lo, exec_lo, s7
	v_mov_b32_e32 v8, 0
	s_and_saveexec_b32 s7, s5
	s_cbranch_execz .LBB0_10
; %bb.9:
	v_dual_mov_b32 v9, 0 :: v_dual_add_nc_u32 v2, 0x90, v29
	s_delay_alu instid0(VALU_DEP_1) | instskip(NEXT) | instid1(VALU_DEP_1)
	v_mul_lo_u32 v2, s4, v2
	v_add3_u32 v8, s6, v1, v2
	s_delay_alu instid0(VALU_DEP_1) | instskip(NEXT) | instid1(VALU_DEP_1)
	v_lshlrev_b64_e32 v[8:9], 3, v[8:9]
	v_add_co_u32 v8, vcc_lo, s2, v8
	s_wait_alu 0xfffd
	s_delay_alu instid0(VALU_DEP_2)
	v_add_co_ci_u32_e32 v9, vcc_lo, s3, v9, vcc_lo
	global_load_b64 v[8:9], v[8:9], off
.LBB0_10:
	s_wait_alu 0xfffe
	s_or_b32 exec_lo, exec_lo, s7
	v_dual_mov_b32 v13, 0 :: v_dual_add_nc_u32 v2, 16, v29
	v_dual_mov_b32 v15, 0 :: v_dual_mov_b32 v14, 0
	s_and_saveexec_b32 s7, s5
	s_cbranch_execz .LBB0_12
; %bb.11:
	s_delay_alu instid0(VALU_DEP_2) | instskip(SKIP_1) | instid1(VALU_DEP_2)
	v_mul_lo_u32 v12, s4, v2
	v_mov_b32_e32 v15, 0
	v_add3_u32 v14, s6, v1, v12
	s_delay_alu instid0(VALU_DEP_1) | instskip(NEXT) | instid1(VALU_DEP_1)
	v_lshlrev_b64_e32 v[14:15], 3, v[14:15]
	v_add_co_u32 v14, vcc_lo, s2, v14
	s_wait_alu 0xfffd
	s_delay_alu instid0(VALU_DEP_2)
	v_add_co_ci_u32_e32 v15, vcc_lo, s3, v15, vcc_lo
	global_load_b64 v[14:15], v[14:15], off
.LBB0_12:
	s_wait_alu 0xfffe
	s_or_b32 exec_lo, exec_lo, s7
	v_mov_b32_e32 v12, 0
	s_and_saveexec_b32 s7, s5
	s_cbranch_execz .LBB0_14
; %bb.13:
	v_or_b32_e32 v12, 64, v29
	v_mov_b32_e32 v13, 0
	s_delay_alu instid0(VALU_DEP_2) | instskip(NEXT) | instid1(VALU_DEP_1)
	v_mul_lo_u32 v12, s4, v12
	v_add3_u32 v12, s6, v1, v12
	s_delay_alu instid0(VALU_DEP_1) | instskip(NEXT) | instid1(VALU_DEP_1)
	v_lshlrev_b64_e32 v[12:13], 3, v[12:13]
	v_add_co_u32 v12, vcc_lo, s2, v12
	s_wait_alu 0xfffd
	s_delay_alu instid0(VALU_DEP_2)
	v_add_co_ci_u32_e32 v13, vcc_lo, s3, v13, vcc_lo
	global_load_b64 v[12:13], v[12:13], off
.LBB0_14:
	s_wait_alu 0xfffe
	s_or_b32 exec_lo, exec_lo, s7
	v_dual_mov_b32 v17, 0 :: v_dual_mov_b32 v18, 0
	v_mov_b32_e32 v19, 0
	s_and_saveexec_b32 s7, s5
	s_cbranch_execz .LBB0_16
; %bb.15:
	v_dual_mov_b32 v19, 0 :: v_dual_add_nc_u32 v16, 0x70, v29
	s_delay_alu instid0(VALU_DEP_1) | instskip(NEXT) | instid1(VALU_DEP_1)
	v_mul_lo_u32 v16, s4, v16
	v_add3_u32 v18, s6, v1, v16
	s_delay_alu instid0(VALU_DEP_1) | instskip(NEXT) | instid1(VALU_DEP_1)
	v_lshlrev_b64_e32 v[18:19], 3, v[18:19]
	v_add_co_u32 v18, vcc_lo, s2, v18
	s_wait_alu 0xfffd
	s_delay_alu instid0(VALU_DEP_2)
	v_add_co_ci_u32_e32 v19, vcc_lo, s3, v19, vcc_lo
	global_load_b64 v[18:19], v[18:19], off
.LBB0_16:
	s_wait_alu 0xfffe
	s_or_b32 exec_lo, exec_lo, s7
	v_mov_b32_e32 v16, 0
	s_and_saveexec_b32 s7, s5
	s_cbranch_execz .LBB0_18
; %bb.17:
	v_dual_mov_b32 v17, 0 :: v_dual_add_nc_u32 v16, 0xa0, v29
	s_delay_alu instid0(VALU_DEP_1) | instskip(NEXT) | instid1(VALU_DEP_1)
	v_mul_lo_u32 v16, s4, v16
	v_add3_u32 v16, s6, v1, v16
	s_delay_alu instid0(VALU_DEP_1) | instskip(NEXT) | instid1(VALU_DEP_1)
	v_lshlrev_b64_e32 v[16:17], 3, v[16:17]
	v_add_co_u32 v16, vcc_lo, s2, v16
	s_wait_alu 0xfffd
	s_delay_alu instid0(VALU_DEP_2)
	v_add_co_ci_u32_e32 v17, vcc_lo, s3, v17, vcc_lo
	global_load_b64 v[16:17], v[16:17], off
.LBB0_18:
	s_wait_alu 0xfffe
	s_or_b32 exec_lo, exec_lo, s7
	v_dual_mov_b32 v21, 0 :: v_dual_add_nc_u32 v28, 32, v29
	v_dual_mov_b32 v23, 0 :: v_dual_mov_b32 v22, 0
	s_and_saveexec_b32 s7, s5
	s_cbranch_execz .LBB0_20
; %bb.19:
	s_delay_alu instid0(VALU_DEP_2) | instskip(SKIP_1) | instid1(VALU_DEP_2)
	v_mul_lo_u32 v20, s4, v28
	v_mov_b32_e32 v23, 0
	v_add3_u32 v22, s6, v1, v20
	s_delay_alu instid0(VALU_DEP_1) | instskip(NEXT) | instid1(VALU_DEP_1)
	v_lshlrev_b64_e32 v[22:23], 3, v[22:23]
	v_add_co_u32 v22, vcc_lo, s2, v22
	s_wait_alu 0xfffd
	s_delay_alu instid0(VALU_DEP_2)
	v_add_co_ci_u32_e32 v23, vcc_lo, s3, v23, vcc_lo
	global_load_b64 v[22:23], v[22:23], off
.LBB0_20:
	s_wait_alu 0xfffe
	s_or_b32 exec_lo, exec_lo, s7
	v_mov_b32_e32 v20, 0
	s_and_saveexec_b32 s7, s5
	s_cbranch_execz .LBB0_22
; %bb.21:
	v_dual_mov_b32 v21, 0 :: v_dual_add_nc_u32 v20, 0x50, v29
	s_delay_alu instid0(VALU_DEP_1) | instskip(NEXT) | instid1(VALU_DEP_1)
	v_mul_lo_u32 v20, s4, v20
	v_add3_u32 v20, s6, v1, v20
	s_delay_alu instid0(VALU_DEP_1) | instskip(NEXT) | instid1(VALU_DEP_1)
	v_lshlrev_b64_e32 v[20:21], 3, v[20:21]
	v_add_co_u32 v20, vcc_lo, s2, v20
	s_wait_alu 0xfffd
	s_delay_alu instid0(VALU_DEP_2)
	v_add_co_ci_u32_e32 v21, vcc_lo, s3, v21, vcc_lo
	global_load_b64 v[20:21], v[20:21], off
.LBB0_22:
	s_wait_alu 0xfffe
	s_or_b32 exec_lo, exec_lo, s7
	s_load_b64 s[8:9], s[0:1], 0x0
	v_dual_mov_b32 v25, 0 :: v_dual_mov_b32 v26, 0
	v_mov_b32_e32 v27, 0
	s_and_saveexec_b32 s7, s5
	s_cbranch_execz .LBB0_24
; %bb.23:
	v_or_b32_e32 v24, 0x80, v29
	v_mov_b32_e32 v27, 0
	s_delay_alu instid0(VALU_DEP_2) | instskip(NEXT) | instid1(VALU_DEP_1)
	v_mul_lo_u32 v24, s4, v24
	v_add3_u32 v26, s6, v1, v24
	s_delay_alu instid0(VALU_DEP_1) | instskip(NEXT) | instid1(VALU_DEP_1)
	v_lshlrev_b64_e32 v[26:27], 3, v[26:27]
	v_add_co_u32 v26, vcc_lo, s2, v26
	s_wait_alu 0xfffd
	s_delay_alu instid0(VALU_DEP_2)
	v_add_co_ci_u32_e32 v27, vcc_lo, s3, v27, vcc_lo
	global_load_b64 v[26:27], v[26:27], off
.LBB0_24:
	s_wait_alu 0xfffe
	s_or_b32 exec_lo, exec_lo, s7
	v_mov_b32_e32 v24, 0
	s_and_saveexec_b32 s7, s5
	s_cbranch_execz .LBB0_26
; %bb.25:
	v_dual_mov_b32 v25, 0 :: v_dual_add_nc_u32 v24, 0xb0, v29
	s_delay_alu instid0(VALU_DEP_1) | instskip(NEXT) | instid1(VALU_DEP_1)
	v_mul_lo_u32 v24, s4, v24
	v_add3_u32 v24, s6, v1, v24
	s_delay_alu instid0(VALU_DEP_1) | instskip(NEXT) | instid1(VALU_DEP_1)
	v_lshlrev_b64_e32 v[24:25], 3, v[24:25]
	v_add_co_u32 v24, vcc_lo, s2, v24
	s_wait_alu 0xfffd
	s_delay_alu instid0(VALU_DEP_2)
	v_add_co_ci_u32_e32 v25, vcc_lo, s3, v25, vcc_lo
	global_load_b64 v[24:25], v[24:25], off
.LBB0_26:
	s_wait_alu 0xfffe
	s_or_b32 exec_lo, exec_lo, s7
	s_wait_loadcnt 0x0
	v_dual_sub_f32 v10, v6, v10 :: v_dual_sub_f32 v11, v7, v11
	v_dual_sub_f32 v8, v4, v8 :: v_dual_sub_f32 v9, v5, v9
	v_sub_f32_e32 v17, v13, v17
	s_delay_alu instid0(VALU_DEP_3) | instskip(NEXT) | instid1(VALU_DEP_4)
	v_fma_f32 v6, v6, 2.0, -v10
	v_fma_f32 v7, v7, 2.0, -v11
	s_delay_alu instid0(VALU_DEP_4) | instskip(SKIP_3) | instid1(VALU_DEP_4)
	v_fma_f32 v4, v4, 2.0, -v8
	v_fma_f32 v5, v5, 2.0, -v9
	v_sub_f32_e32 v18, v14, v18
	v_dual_add_f32 v9, v10, v9 :: v_dual_sub_f32 v8, v11, v8
	v_sub_f32_e32 v32, v6, v4
	s_delay_alu instid0(VALU_DEP_4) | instskip(SKIP_2) | instid1(VALU_DEP_3)
	v_dual_sub_f32 v4, v12, v16 :: v_dual_sub_f32 v5, v7, v5
	v_dual_sub_f32 v16, v15, v19 :: v_dual_sub_f32 v25, v21, v25
	v_fma_f32 v14, v14, 2.0, -v18
	v_fma_f32 v12, v12, 2.0, -v4
	;; [unrolled: 1-line block ×3, first 2 shown]
	s_delay_alu instid0(VALU_DEP_4) | instskip(SKIP_3) | instid1(VALU_DEP_3)
	v_fma_f32 v11, v15, 2.0, -v16
	v_fma_f32 v13, v13, 2.0, -v17
	v_sub_f32_e32 v15, v22, v26
	v_dual_sub_f32 v12, v14, v12 :: v_dual_sub_f32 v19, v23, v27
	v_dual_sub_f32 v24, v20, v24 :: v_dual_sub_f32 v13, v11, v13
	s_delay_alu instid0(VALU_DEP_3) | instskip(SKIP_1) | instid1(VALU_DEP_4)
	v_fma_f32 v22, v22, 2.0, -v15
	v_fma_f32 v21, v21, 2.0, -v25
	;; [unrolled: 1-line block ×3, first 2 shown]
	s_delay_alu instid0(VALU_DEP_4) | instskip(SKIP_2) | instid1(VALU_DEP_3)
	v_fma_f32 v20, v20, 2.0, -v24
	v_dual_add_f32 v17, v18, v17 :: v_dual_sub_f32 v26, v16, v4
	v_fma_f32 v34, v11, 2.0, -v13
	v_dual_sub_f32 v27, v23, v21 :: v_dual_sub_f32 v20, v22, v20
	s_delay_alu instid0(VALU_DEP_3)
	v_fma_f32 v11, v18, 2.0, -v17
	v_lshlrev_b32_e32 v18, 8, v29
	v_dual_add_f32 v21, v15, v25 :: v_dual_lshlrev_b32 v4, 2, v31
	v_fma_f32 v35, v16, 2.0, -v26
	v_fma_f32 v16, v22, 2.0, -v20
	;; [unrolled: 1-line block ×3, first 2 shown]
	v_dual_sub_f32 v24, v19, v24 :: v_dual_lshlrev_b32 v23, 8, v2
	v_lshlrev_b32_e32 v25, 8, v28
	v_fma_f32 v6, v6, 2.0, -v32
	v_fma_f32 v10, v10, 2.0, -v9
	v_add3_u32 v31, 0, v18, v4
	v_fma_f32 v14, v14, 2.0, -v12
	v_add3_u32 v23, 0, v23, v4
	;; [unrolled: 2-line block ×3, first 2 shown]
	v_fma_f32 v7, v7, 2.0, -v5
	ds_store_2addr_b32 v31, v6, v10 offset1:16
	ds_store_2addr_b32 v31, v32, v9 offset0:32 offset1:48
	ds_store_2addr_b32 v23, v14, v11 offset1:16
	ds_store_2addr_b32 v23, v12, v17 offset0:32 offset1:48
	;; [unrolled: 2-line block ×3, first 2 shown]
	v_mad_i32_i24 v17, 0xffffff40, v29, v31
	v_lshlrev_b32_e32 v6, 6, v30
	v_bfe_u32 v32, v0, 4, 2
	v_mad_i32_i24 v14, 0xffffff40, v2, v23
	v_mad_i32_i24 v15, 0xffffff40, v28, v25
	v_fma_f32 v36, v19, 2.0, -v24
	global_wb scope:SCOPE_SE
	s_wait_dscnt 0x0
	s_wait_kmcnt 0x0
	s_barrier_signal -1
	s_barrier_wait -1
	global_inv scope:SCOPE_SE
	ds_load_2addr_stride64_b32 v[9:10], v17 offset1:16
	v_add3_u32 v16, 0, v6, v4
	ds_load_2addr_stride64_b32 v[11:12], v17 offset0:20 offset1:24
	ds_load_2addr_stride64_b32 v[18:19], v17 offset0:36 offset1:40
	;; [unrolled: 1-line block ×3, first 2 shown]
	ds_load_b32 v37, v14
	ds_load_b32 v38, v15
	;; [unrolled: 1-line block ×3, first 2 shown]
	ds_load_b32 v40, v17 offset:11264
	global_wb scope:SCOPE_SE
	s_wait_dscnt 0x0
	s_barrier_signal -1
	s_barrier_wait -1
	global_inv scope:SCOPE_SE
	ds_store_2addr_b32 v31, v7, v33 offset1:16
	ds_store_2addr_b32 v31, v5, v8 offset0:32 offset1:48
	v_mul_u32_u24_e32 v5, 3, v32
	ds_store_2addr_b32 v23, v34, v35 offset1:16
	ds_store_2addr_b32 v23, v13, v26 offset0:32 offset1:48
	ds_store_2addr_b32 v25, v22, v36 offset1:16
	ds_store_2addr_b32 v25, v27, v24 offset0:32 offset1:48
	global_wb scope:SCOPE_SE
	s_wait_dscnt 0x0
	s_barrier_signal -1
	s_barrier_wait -1
	v_lshlrev_b32_e32 v13, 3, v5
	global_inv scope:SCOPE_SE
	s_clause 0x1
	global_load_b128 v[5:8], v13, s[8:9]
	global_load_b64 v[22:23], v13, s[8:9] offset:16
	ds_load_2addr_stride64_b32 v[26:27], v17 offset0:36 offset1:40
	v_lshlrev_b32_e32 v24, 2, v2
	v_lshlrev_b32_e32 v25, 2, v28
	;; [unrolled: 1-line block ×3, first 2 shown]
	ds_load_b32 v36, v16
	v_bfe_u32 v35, v0, 4, 4
	s_wait_loadcnt 0x1
	v_mul_f32_e32 v54, v10, v6
	s_wait_loadcnt 0x0
	v_mul_f32_e32 v52, v18, v23
	v_and_or_b32 v33, 0x1f0, v25, v32
	s_wait_dscnt 0x1
	v_mul_f32_e32 v51, v26, v23
	v_and_or_b32 v31, 0x1f0, v24, v32
	v_and_or_b32 v13, 0xf0, v13, v32
	ds_load_2addr_stride64_b32 v[24:25], v17 offset0:20 offset1:24
	v_mul_f32_e32 v48, v39, v6
	v_dual_mul_f32 v56, v20, v8 :: v_dual_lshlrev_b32 v41, 6, v31
	ds_load_2addr_stride64_b32 v[31:32], v17 offset1:16
	v_lshlrev_b32_e32 v42, 6, v33
	ds_load_2addr_stride64_b32 v[33:34], v17 offset0:28 offset1:32
	ds_load_b32 v44, v14
	ds_load_b32 v45, v15
	ds_load_b32 v46, v17 offset:11264
	v_lshlrev_b32_e32 v13, 6, v13
	v_lshlrev_b32_e32 v43, 4, v35
	s_wait_dscnt 0x6
	v_mul_f32_e32 v47, v36, v6
	v_dual_mul_f32 v50, v12, v8 :: v_dual_mul_f32 v57, v27, v23
	v_mul_f32_e32 v58, v19, v23
	v_fma_f32 v36, v36, v5, -v48
	v_add3_u32 v13, 0, v13, v4
	global_wb scope:SCOPE_SE
	s_wait_dscnt 0x0
	s_barrier_signal -1
	s_barrier_wait -1
	global_inv scope:SCOPE_SE
	v_mul_f32_e32 v49, v25, v8
	v_mul_f32_e32 v53, v32, v6
	v_add3_u32 v42, 0, v42, v4
	v_mul_f32_e32 v55, v33, v8
	v_dual_mul_f32 v60, v34, v8 :: v_dual_mul_f32 v59, v24, v6
	v_mul_f32_e32 v6, v11, v6
	v_mul_f32_e32 v8, v21, v8
	v_add3_u32 v41, 0, v41, v4
	s_delay_alu instid0(VALU_DEP_4) | instskip(SKIP_4) | instid1(VALU_DEP_3)
	v_dual_fmac_f32 v60, v21, v7 :: v_dual_fmac_f32 v59, v11, v5
	v_fmac_f32_e32 v55, v20, v7
	v_fma_f32 v20, v33, v7, -v56
	v_fmac_f32_e32 v51, v18, v22
	v_fma_f32 v18, v26, v22, -v52
	v_dual_fmac_f32 v47, v39, v5 :: v_dual_sub_f32 v20, v44, v20
	s_delay_alu instid0(VALU_DEP_2)
	v_dual_sub_f32 v18, v36, v18 :: v_dual_fmac_f32 v53, v10, v5
	v_fma_f32 v10, v32, v5, -v54
	v_fma_f32 v5, v24, v5, -v6
	;; [unrolled: 1-line block ×3, first 2 shown]
	v_fmac_f32_e32 v49, v12, v7
	v_fma_f32 v12, v25, v7, -v50
	v_fma_f32 v32, v44, 2.0, -v20
	s_delay_alu instid0(VALU_DEP_4) | instskip(NEXT) | instid1(VALU_DEP_3)
	v_dual_sub_f32 v6, v45, v6 :: v_dual_mul_f32 v61, v46, v23
	v_dual_sub_f32 v8, v9, v49 :: v_dual_sub_f32 v11, v31, v12
	s_delay_alu instid0(VALU_DEP_2) | instskip(NEXT) | instid1(VALU_DEP_2)
	v_dual_sub_f32 v12, v47, v51 :: v_dual_fmac_f32 v61, v40, v22
	v_fma_f32 v9, v9, 2.0, -v8
	s_delay_alu instid0(VALU_DEP_3) | instskip(NEXT) | instid1(VALU_DEP_3)
	v_fma_f32 v25, v31, 2.0, -v11
	v_fma_f32 v26, v47, 2.0, -v12
	v_sub_f32_e32 v31, v11, v12
	v_dual_sub_f32 v24, v59, v61 :: v_dual_sub_f32 v21, v37, v55
	v_fmac_f32_e32 v57, v19, v22
	v_fma_f32 v19, v27, v22, -v58
	v_fma_f32 v27, v36, 2.0, -v18
	v_add_f32_e32 v18, v8, v18
	v_fma_f32 v12, v37, 2.0, -v21
	v_fma_f32 v37, v59, 2.0, -v24
	v_dual_sub_f32 v24, v6, v24 :: v_dual_mul_f32 v23, v40, v23
	v_dual_sub_f32 v19, v10, v19 :: v_dual_sub_f32 v26, v9, v26
	v_fma_f32 v36, v45, 2.0, -v6
	v_sub_f32_e32 v27, v25, v27
	s_delay_alu instid0(VALU_DEP_4) | instskip(SKIP_3) | instid1(VALU_DEP_4)
	v_fma_f32 v7, v46, v22, -v23
	v_dual_sub_f32 v22, v53, v57 :: v_dual_sub_f32 v23, v38, v60
	v_fma_f32 v10, v10, 2.0, -v19
	v_add_f32_e32 v19, v21, v19
	v_sub_f32_e32 v7, v5, v7
	s_delay_alu instid0(VALU_DEP_4)
	v_fma_f32 v33, v53, 2.0, -v22
	v_sub_f32_e32 v22, v20, v22
	v_fma_f32 v34, v38, 2.0, -v23
	v_fma_f32 v38, v11, 2.0, -v31
	;; [unrolled: 1-line block ×3, first 2 shown]
	v_add_f32_e32 v7, v23, v7
	v_sub_f32_e32 v11, v12, v33
	v_sub_f32_e32 v33, v32, v10
	v_fma_f32 v39, v20, 2.0, -v22
	v_sub_f32_e32 v20, v34, v37
	v_sub_f32_e32 v5, v36, v5
	v_fma_f32 v8, v8, 2.0, -v18
	v_fma_f32 v10, v21, 2.0, -v19
	;; [unrolled: 1-line block ×10, first 2 shown]
	ds_store_2addr_stride64_b32 v13, v9, v8 offset1:1
	ds_store_2addr_stride64_b32 v13, v26, v18 offset0:2 offset1:3
	ds_store_2addr_stride64_b32 v41, v12, v10 offset1:1
	ds_store_2addr_stride64_b32 v41, v11, v19 offset0:2 offset1:3
	;; [unrolled: 2-line block ×3, first 2 shown]
	global_wb scope:SCOPE_SE
	s_wait_dscnt 0x0
	s_barrier_signal -1
	s_barrier_wait -1
	global_inv scope:SCOPE_SE
	ds_load_2addr_stride64_b32 v[9:10], v17 offset1:16
	ds_load_2addr_stride64_b32 v[11:12], v17 offset0:28 offset1:32
	ds_load_2addr_stride64_b32 v[18:19], v17 offset0:20 offset1:24
	;; [unrolled: 1-line block ×3, first 2 shown]
	ds_load_b32 v32, v15
	ds_load_b32 v36, v14
	;; [unrolled: 1-line block ×3, first 2 shown]
	ds_load_b32 v40, v17 offset:11264
	global_wb scope:SCOPE_SE
	s_wait_dscnt 0x0
	s_barrier_signal -1
	s_barrier_wait -1
	global_inv scope:SCOPE_SE
	ds_store_2addr_stride64_b32 v13, v23, v38 offset1:1
	ds_store_2addr_stride64_b32 v13, v27, v31 offset0:2 offset1:3
	ds_store_2addr_stride64_b32 v41, v25, v39 offset1:1
	ds_store_2addr_stride64_b32 v41, v33, v22 offset0:2 offset1:3
	;; [unrolled: 2-line block ×3, first 2 shown]
	global_wb scope:SCOPE_SE
	s_wait_dscnt 0x0
	s_barrier_signal -1
	s_barrier_wait -1
	global_inv scope:SCOPE_SE
	global_load_b128 v[5:8], v43, s[8:9] offset:96
	v_lshrrev_b32_e32 v24, 4, v30
	v_lshrrev_b32_e32 v23, 4, v28
	;; [unrolled: 1-line block ×4, first 2 shown]
	s_delay_alu instid0(VALU_DEP_4) | instskip(NEXT) | instid1(VALU_DEP_4)
	v_mul_u32_u24_e32 v24, 48, v24
	v_mul_u32_u24_e32 v23, 48, v23
	s_delay_alu instid0(VALU_DEP_4) | instskip(NEXT) | instid1(VALU_DEP_4)
	v_mul_u32_u24_e32 v13, 48, v13
	v_mul_u32_u24_e32 v22, 48, v22
	s_delay_alu instid0(VALU_DEP_4)
	v_or_b32_e32 v33, v24, v35
	ds_load_2addr_stride64_b32 v[24:25], v17 offset0:28 offset1:32
	v_or_b32_e32 v30, v23, v35
	v_or_b32_e32 v13, v13, v35
	;; [unrolled: 1-line block ×3, first 2 shown]
	ds_load_2addr_stride64_b32 v[22:23], v17 offset1:16
	v_lshlrev_b32_e32 v13, 6, v13
	v_lshlrev_b32_e32 v34, 6, v26
	ds_load_2addr_stride64_b32 v[26:27], v17 offset0:20 offset1:24
	v_add3_u32 v38, 0, v13, v4
	v_add3_u32 v34, 0, v34, v4
	s_wait_loadcnt_dscnt 0x2
	v_dual_mul_f32 v44, v25, v8 :: v_dual_lshlrev_b32 v35, 6, v30
	ds_load_2addr_stride64_b32 v[30:31], v17 offset0:36 offset1:40
	ds_load_b32 v39, v15
	ds_load_b32 v41, v14
	;; [unrolled: 1-line block ×3, first 2 shown]
	ds_load_b32 v13, v17 offset:11264
	v_mul_f32_e32 v54, v24, v6
	v_fmac_f32_e32 v44, v12, v7
	v_mul_f32_e32 v45, v12, v8
	v_add3_u32 v35, 0, v35, v4
	s_wait_dscnt 0x5
	v_mul_f32_e32 v46, v26, v6
	v_fmac_f32_e32 v54, v11, v5
	v_mul_f32_e32 v50, v27, v6
	v_mul_f32_e32 v43, v10, v6
	v_fma_f32 v12, v25, v7, -v45
	v_dual_fmac_f32 v46, v18, v5 :: v_dual_mul_f32 v53, v21, v8
	s_delay_alu instid0(VALU_DEP_4)
	v_fmac_f32_e32 v50, v19, v5
	global_wb scope:SCOPE_SE
	s_wait_dscnt 0x0
	s_barrier_signal -1
	s_barrier_wait -1
	global_inv scope:SCOPE_SE
	v_dual_mul_f32 v48, v30, v8 :: v_dual_lshlrev_b32 v33, 6, v33
	v_mul_f32_e32 v52, v31, v8
	s_delay_alu instid0(VALU_DEP_2) | instskip(NEXT) | instid1(VALU_DEP_3)
	v_fmac_f32_e32 v48, v20, v7
	v_add3_u32 v4, 0, v33, v4
	s_delay_alu instid0(VALU_DEP_3) | instskip(NEXT) | instid1(VALU_DEP_3)
	v_dual_mul_f32 v33, v23, v6 :: v_dual_fmac_f32 v52, v21, v7
	v_add_f32_e32 v25, v46, v48
	s_delay_alu instid0(VALU_DEP_2) | instskip(SKIP_4) | instid1(VALU_DEP_4)
	v_fmac_f32_e32 v33, v10, v5
	v_mul_f32_e32 v47, v18, v6
	v_fma_f32 v10, v23, v5, -v43
	v_mul_f32_e32 v51, v19, v6
	v_mul_f32_e32 v6, v11, v6
	v_fma_f32 v18, v26, v5, -v47
	s_delay_alu instid0(VALU_DEP_4) | instskip(NEXT) | instid1(VALU_DEP_4)
	v_add_f32_e32 v11, v22, v10
	v_fma_f32 v19, v27, v5, -v51
	s_delay_alu instid0(VALU_DEP_4) | instskip(SKIP_4) | instid1(VALU_DEP_4)
	v_fma_f32 v5, v24, v5, -v6
	v_dual_mul_f32 v55, v13, v8 :: v_dual_add_f32 v24, v36, v46
	v_fma_f32 v21, v31, v7, -v53
	v_mul_f32_e32 v49, v20, v8
	v_mul_f32_e32 v8, v40, v8
	v_fmac_f32_e32 v55, v40, v7
	s_delay_alu instid0(VALU_DEP_4) | instskip(NEXT) | instid1(VALU_DEP_4)
	v_dual_add_f32 v31, v32, v50 :: v_dual_sub_f32 v40, v19, v21
	v_fma_f32 v20, v30, v7, -v49
	s_delay_alu instid0(VALU_DEP_4) | instskip(SKIP_2) | instid1(VALU_DEP_4)
	v_fma_f32 v23, v13, v7, -v8
	v_sub_f32_e32 v8, v10, v12
	v_dual_add_f32 v10, v10, v12 :: v_dual_add_f32 v27, v41, v18
	v_sub_f32_e32 v26, v18, v20
	v_add_f32_e32 v18, v18, v20
	v_sub_f32_e32 v30, v46, v48
	v_dual_sub_f32 v45, v50, v52 :: v_dual_add_f32 v46, v37, v54
	v_add_f32_e32 v6, v9, v33
	v_dual_add_f32 v7, v33, v44 :: v_dual_fmac_f32 v22, -0.5, v10
	v_sub_f32_e32 v13, v33, v44
	v_add_f32_e32 v33, v50, v52
	v_dual_sub_f32 v49, v5, v23 :: v_dual_add_f32 v50, v42, v5
	v_dual_add_f32 v5, v5, v23 :: v_dual_add_f32 v10, v31, v52
	s_delay_alu instid0(VALU_DEP_3) | instskip(SKIP_1) | instid1(VALU_DEP_3)
	v_dual_fmac_f32 v32, -0.5, v33 :: v_dual_fmac_f32 v9, -0.5, v7
	v_dual_add_f32 v43, v39, v19 :: v_dual_add_f32 v6, v6, v44
	v_fmac_f32_e32 v42, -0.5, v5
	v_dual_fmac_f32 v36, -0.5, v25 :: v_dual_add_f32 v47, v54, v55
	v_add_f32_e32 v44, v11, v12
	v_add_f32_e32 v19, v19, v21
	v_dual_sub_f32 v51, v54, v55 :: v_dual_fmamk_f32 v12, v40, 0xbf5db3d7, v32
	s_delay_alu instid0(VALU_DEP_4)
	v_fmac_f32_e32 v37, -0.5, v47
	v_dual_fmac_f32 v41, -0.5, v18 :: v_dual_fmac_f32 v32, 0x3f5db3d7, v40
	v_fmamk_f32 v5, v8, 0xbf5db3d7, v9
	v_fmac_f32_e32 v9, 0x3f5db3d7, v8
	v_dual_add_f32 v7, v24, v48 :: v_dual_fmamk_f32 v8, v26, 0xbf5db3d7, v36
	v_fmac_f32_e32 v36, 0x3f5db3d7, v26
	v_fmamk_f32 v26, v30, 0x3f5db3d7, v41
	v_dual_add_f32 v24, v27, v20 :: v_dual_add_f32 v11, v46, v55
	v_fmamk_f32 v27, v13, 0x3f5db3d7, v22
	v_dual_fmac_f32 v22, 0xbf5db3d7, v13 :: v_dual_fmamk_f32 v13, v49, 0xbf5db3d7, v37
	v_fmac_f32_e32 v39, -0.5, v19
	v_add_f32_e32 v25, v43, v21
	v_fmac_f32_e32 v37, 0x3f5db3d7, v49
	ds_store_2addr_stride64_b32 v38, v6, v5 offset1:4
	ds_store_b32 v38, v9 offset:2048
	ds_store_2addr_stride64_b32 v34, v7, v8 offset1:4
	ds_store_b32 v34, v36 offset:2048
	;; [unrolled: 2-line block ×4, first 2 shown]
	global_wb scope:SCOPE_SE
	s_wait_dscnt 0x0
	s_barrier_signal -1
	s_barrier_wait -1
	global_inv scope:SCOPE_SE
	ds_load_2addr_stride64_b32 v[6:7], v17 offset1:16
	ds_load_2addr_stride64_b32 v[8:9], v17 offset0:20 offset1:24
	ds_load_2addr_stride64_b32 v[10:11], v17 offset0:36 offset1:40
	ds_load_2addr_stride64_b32 v[12:13], v17 offset0:28 offset1:32
	ds_load_b32 v18, v14
	ds_load_b32 v20, v15
	;; [unrolled: 1-line block ×3, first 2 shown]
	ds_load_b32 v21, v17 offset:11264
	v_add_f32_e32 v5, v50, v23
	v_fmamk_f32 v23, v51, 0x3f5db3d7, v42
	v_dual_fmac_f32 v42, 0xbf5db3d7, v51 :: v_dual_fmac_f32 v41, 0xbf5db3d7, v30
	v_fmamk_f32 v30, v45, 0x3f5db3d7, v39
	v_fmac_f32_e32 v39, 0xbf5db3d7, v45
	global_wb scope:SCOPE_SE
	s_wait_dscnt 0x0
	s_barrier_signal -1
	s_barrier_wait -1
	global_inv scope:SCOPE_SE
	ds_store_2addr_stride64_b32 v38, v44, v27 offset1:4
	ds_store_b32 v38, v22 offset:2048
	ds_store_2addr_stride64_b32 v34, v24, v26 offset1:4
	ds_store_b32 v34, v41 offset:2048
	;; [unrolled: 2-line block ×4, first 2 shown]
	global_wb scope:SCOPE_SE
	s_wait_dscnt 0x0
	s_barrier_signal -1
	s_barrier_wait -1
	global_inv scope:SCOPE_SE
	s_and_saveexec_b32 s7, s5
	s_cbranch_execz .LBB0_28
; %bb.27:
	v_dual_mov_b32 v5, 0 :: v_dual_add_nc_u32 v4, -16, v29
	v_cmp_gt_u32_e32 vcc_lo, 0x100, v0
	v_subrev_nc_u32_e32 v22, 32, v29
	s_load_b64 s[0:1], s[0:1], 0x8
	s_delay_alu instid0(VALU_DEP_3) | instskip(SKIP_3) | instid1(VALU_DEP_1)
	v_cndmask_b32_e32 v44, v4, v28, vcc_lo
	v_cmp_gt_u32_e32 vcc_lo, 0x200, v0
	s_wait_alu 0xfffd
	v_cndmask_b32_e32 v66, v22, v2, vcc_lo
	v_add_nc_u32_e32 v47, 48, v66
	v_add_nc_u32_e32 v41, 48, v44
	v_mul_i32_i24_e32 v4, 3, v44
	s_delay_alu instid0(VALU_DEP_3) | instskip(NEXT) | instid1(VALU_DEP_3)
	v_mul_lo_u32 v56, v3, v47
	v_mul_lo_u32 v45, v3, v41
	s_delay_alu instid0(VALU_DEP_3) | instskip(SKIP_1) | instid1(VALU_DEP_2)
	v_lshlrev_b64_e32 v[22:23], 3, v[4:5]
	v_mul_i32_i24_e32 v4, 3, v66
	v_add_co_u32 v26, vcc_lo, s8, v22
	s_wait_alu 0xfffd
	s_delay_alu instid0(VALU_DEP_3) | instskip(NEXT) | instid1(VALU_DEP_3)
	v_add_co_ci_u32_e32 v27, vcc_lo, s9, v23, vcc_lo
	v_lshlrev_b64_e32 v[30:31], 3, v[4:5]
	v_lshrrev_b32_e32 v60, 5, v56
	global_load_b128 v[22:25], v[26:27], off offset:352
	v_add_co_u32 v34, vcc_lo, s8, v30
	s_wait_alu 0xfffd
	v_add_co_ci_u32_e32 v35, vcc_lo, s9, v31, vcc_lo
	v_cmp_gt_u32_e32 vcc_lo, 0x300, v0
	v_and_b32_e32 v62, 0x7f8, v60
	global_load_b128 v[30:33], v[34:35], off offset:352
	v_add_nc_u32_e32 v4, 0x90, v44
	s_delay_alu instid0(VALU_DEP_1) | instskip(NEXT) | instid1(VALU_DEP_1)
	v_mul_lo_u32 v4, v3, v4
	v_and_b32_e32 v36, 0xff, v4
	v_lshrrev_b32_e32 v4, 5, v4
	s_delay_alu instid0(VALU_DEP_2) | instskip(NEXT) | instid1(VALU_DEP_2)
	v_lshlrev_b32_e32 v36, 3, v36
	v_and_b32_e32 v4, 0x7f8, v4
	s_wait_kmcnt 0x0
	s_clause 0x1
	global_load_b64 v[36:37], v36, s[0:1]
	global_load_b64 v[38:39], v4, s[0:1] offset:2048
	v_add_nc_u32_e32 v4, 0x60, v44
	v_mul_lo_u32 v44, v3, v44
	v_add_nc_u32_e32 v46, 0x60, v66
	v_and_b32_e32 v48, 0xff, v45
	v_lshrrev_b32_e32 v45, 5, v45
	v_mul_lo_u32 v4, v3, v4
	s_delay_alu instid0(VALU_DEP_4) | instskip(NEXT) | instid1(VALU_DEP_3)
	v_mul_lo_u32 v52, v3, v46
	v_and_b32_e32 v49, 0x7f8, v45
	s_delay_alu instid0(VALU_DEP_3) | instskip(SKIP_1) | instid1(VALU_DEP_2)
	v_and_b32_e32 v40, 0xff, v4
	v_lshrrev_b32_e32 v4, 5, v4
	v_lshlrev_b32_e32 v40, 3, v40
	s_delay_alu instid0(VALU_DEP_2)
	v_and_b32_e32 v4, 0x7f8, v4
	s_clause 0x1
	global_load_b64 v[40:41], v40, s[0:1]
	global_load_b64 v[42:43], v4, s[0:1] offset:2048
	v_add_nc_u32_e32 v4, 0x90, v66
	v_and_b32_e32 v46, 0xff, v44
	v_lshrrev_b32_e32 v44, 5, v44
	v_lshlrev_b32_e32 v48, 3, v48
	v_and_b32_e32 v54, 0xff, v52
	v_mul_lo_u32 v4, v3, v4
	v_lshlrev_b32_e32 v50, 3, v46
	v_lshrrev_b32_e32 v52, 5, v52
	v_and_b32_e32 v51, 0x7f8, v44
	s_clause 0x3
	global_load_b64 v[44:45], v48, s[0:1]
	global_load_b64 v[46:47], v49, s[0:1] offset:2048
	global_load_b64 v[48:49], v50, s[0:1]
	global_load_b64 v[50:51], v51, s[0:1] offset:2048
	v_and_b32_e32 v53, 0xff, v4
	v_lshrrev_b32_e32 v4, 5, v4
	v_lshlrev_b32_e32 v57, 3, v54
	v_and_b32_e32 v58, 0x7f8, v52
	s_delay_alu instid0(VALU_DEP_4) | instskip(NEXT) | instid1(VALU_DEP_4)
	v_lshlrev_b32_e32 v53, 3, v53
	v_and_b32_e32 v4, 0x7f8, v4
	s_clause 0x1
	global_load_b64 v[52:53], v53, s[0:1]
	global_load_b64 v[54:55], v4, s[0:1] offset:2048
	v_and_b32_e32 v4, 0xff, v56
	s_clause 0x1
	global_load_b64 v[56:57], v57, s[0:1]
	global_load_b64 v[58:59], v58, s[0:1] offset:2048
	v_lshlrev_b32_e32 v4, 3, v4
	s_clause 0x1
	global_load_b64 v[60:61], v4, s[0:1]
	global_load_b64 v[62:63], v62, s[0:1] offset:2048
	global_load_b64 v[26:27], v[26:27], off offset:368
	v_subrev_nc_u32_e32 v4, 48, v29
	global_load_b64 v[34:35], v[34:35], off offset:368
	ds_load_2addr_stride64_b32 v[64:65], v17 offset0:28 offset1:32
	s_wait_alu 0xfffd
	v_cndmask_b32_e32 v29, v4, v29, vcc_lo
	v_mul_lo_u32 v4, v3, v66
	ds_load_2addr_stride64_b32 v[66:67], v17 offset0:20 offset1:24
	ds_load_2addr_stride64_b32 v[68:69], v17 offset1:16
	v_add_nc_u32_e32 v70, 0x90, v29
	v_add_nc_u32_e32 v71, 0x60, v29
	;; [unrolled: 1-line block ×3, first 2 shown]
	v_mul_lo_u32 v73, v3, v29
	v_lshrrev_b32_e32 v74, 5, v4
	v_mul_lo_u32 v70, v3, v70
	v_mul_lo_u32 v71, v3, v71
	;; [unrolled: 1-line block ×3, first 2 shown]
	v_and_b32_e32 v72, 0xff, v4
	v_and_b32_e32 v74, 0x7f8, v74
	v_mul_i32_i24_e32 v4, 3, v29
	v_and_b32_e32 v75, 0xff, v73
	v_lshrrev_b32_e32 v73, 5, v73
	v_and_b32_e32 v76, 0xff, v70
	v_lshrrev_b32_e32 v70, 5, v70
	v_and_b32_e32 v78, 0xff, v3
	v_and_b32_e32 v77, 0xff, v71
	v_lshrrev_b32_e32 v71, 5, v71
	v_lshlrev_b32_e32 v72, 3, v72
	v_lshrrev_b32_e32 v79, 5, v3
	v_lshlrev_b32_e32 v80, 3, v75
	v_lshlrev_b32_e32 v75, 3, v76
	;; [unrolled: 1-line block ×3, first 2 shown]
	v_and_b32_e32 v76, 0x7f8, v70
	v_lshlrev_b32_e32 v77, 3, v77
	v_and_b32_e32 v81, 0x7f8, v71
	v_and_b32_e32 v82, 0x7f8, v73
	s_clause 0x1
	global_load_b64 v[70:71], v72, s[0:1]
	global_load_b64 v[72:73], v74, s[0:1] offset:2048
	v_and_b32_e32 v84, 0x7f8, v79
	v_lshlrev_b64_e32 v[3:4], 3, v[4:5]
	s_delay_alu instid0(VALU_DEP_1) | instskip(SKIP_1) | instid1(VALU_DEP_2)
	v_add_co_u32 v3, vcc_lo, s8, v3
	s_wait_alu 0xfffd
	v_add_co_ci_u32_e32 v4, vcc_lo, s9, v4, vcc_lo
	v_cmp_lt_u32_e32 vcc_lo, 0x1ff, v0
	s_wait_loadcnt_dscnt 0x1301
	v_dual_mul_f32 v78, v13, v25 :: v_dual_mul_f32 v85, v66, v23
	v_dual_mul_f32 v23, v8, v23 :: v_dual_mul_f32 v86, v65, v25
	s_delay_alu instid0(VALU_DEP_2) | instskip(NEXT) | instid1(VALU_DEP_3)
	v_fma_f32 v87, v65, v24, -v78
	v_fmac_f32_e32 v85, v8, v22
	s_delay_alu instid0(VALU_DEP_3)
	v_fma_f32 v88, v66, v22, -v23
	s_clause 0x3
	global_load_b64 v[65:66], v75, s[0:1]
	global_load_b64 v[74:75], v76, s[0:1] offset:2048
	global_load_b64 v[76:77], v77, s[0:1]
	global_load_b64 v[78:79], v81, s[0:1] offset:2048
	v_fmac_f32_e32 v86, v13, v24
	s_wait_loadcnt 0x16
	v_mul_f32_e32 v8, v12, v33
	v_mul_f32_e32 v33, v64, v33
	s_wait_dscnt 0x0
	v_mul_f32_e32 v89, v69, v31
	v_mul_f32_e32 v22, v7, v31
	v_fma_f32 v64, v64, v32, -v8
	v_fmac_f32_e32 v33, v12, v32
	s_clause 0x3
	global_load_b64 v[12:13], v83, s[0:1]
	global_load_b64 v[31:32], v84, s[0:1] offset:2048
	global_load_b64 v[80:81], v80, s[0:1]
	global_load_b64 v[82:83], v82, s[0:1] offset:2048
	v_fmac_f32_e32 v89, v7, v30
	v_fma_f32 v30, v69, v30, -v22
	s_clause 0x1
	global_load_b128 v[22:25], v[3:4], off offset:352
	global_load_b64 v[3:4], v[3:4], off offset:368
	v_sub_f32_e32 v33, v18, v33
	s_wait_loadcnt 0x1a
	v_mul_f32_e32 v7, v37, v39
	v_mul_f32_e32 v69, v36, v39
	s_delay_alu instid0(VALU_DEP_2) | instskip(NEXT) | instid1(VALU_DEP_2)
	v_fma_f32 v84, v36, v38, -v7
	v_fmac_f32_e32 v69, v37, v38
	s_wait_loadcnt 0x18
	v_mul_f32_e32 v7, v41, v43
	v_mul_f32_e32 v43, v40, v43
	s_delay_alu instid0(VALU_DEP_2) | instskip(NEXT) | instid1(VALU_DEP_2)
	v_fma_f32 v90, v40, v42, -v7
	v_fmac_f32_e32 v43, v41, v42
	ds_load_b32 v42, v17 offset:11264
	ds_load_2addr_stride64_b32 v[7:8], v17 offset0:36 offset1:40
	s_wait_alu 0xfffd
	v_cndmask_b32_e64 v17, 0, 0x90, vcc_lo
	v_cmp_lt_u32_e32 vcc_lo, 0xff, v0
	ds_load_b32 v91, v16
	v_add_nc_u32_e32 v92, v17, v2
	s_wait_alu 0xfffd
	v_cndmask_b32_e64 v36, 0, 0x90, vcc_lo
	v_cmp_lt_u32_e32 vcc_lo, 0x2ff, v0
	s_wait_loadcnt 0x16
	v_mul_f32_e32 v2, v45, v47
	v_mul_f32_e32 v47, v44, v47
	s_wait_loadcnt 0x14
	v_mul_f32_e32 v16, v49, v51
	v_add_nc_u32_e32 v0, s6, v1
	s_wait_alu 0xfffd
	v_cndmask_b32_e64 v37, 0, 0xc0, vcc_lo
	v_fma_f32 v44, v44, v46, -v2
	v_fmac_f32_e32 v47, v45, v46
	v_mul_f32_e32 v45, v48, v51
	v_fma_f32 v46, v48, v50, -v16
	s_wait_loadcnt 0x12
	v_mul_f32_e32 v16, v53, v55
	s_delay_alu instid0(VALU_DEP_3)
	v_dual_mul_f32 v48, v52, v55 :: v_dual_fmac_f32 v45, v49, v50
	s_wait_loadcnt 0x10
	v_mul_f32_e32 v50, v56, v59
	v_add_nc_u32_e32 v93, v36, v28
	v_or_b32_e32 v28, v29, v37
	v_mul_f32_e32 v37, v57, v59
	v_fma_f32 v49, v52, v54, -v16
	v_fmac_f32_e32 v50, v57, v58
	s_wait_loadcnt 0xe
	v_mul_f32_e32 v52, v60, v63
	v_dual_fmac_f32 v48, v53, v54 :: v_dual_add_nc_u32 v53, 0x90, v28
	v_fma_f32 v51, v56, v58, -v37
	ds_load_b32 v56, v15
	ds_load_b32 v57, v14
	s_wait_loadcnt_dscnt 0xd04
	v_dual_fmac_f32 v52, v61, v62 :: v_dual_mul_f32 v55, v42, v27
	v_dual_mul_f32 v27, v21, v27 :: v_dual_add_nc_u32 v40, 0x60, v28
	s_delay_alu instid0(VALU_DEP_2) | instskip(NEXT) | instid1(VALU_DEP_2)
	v_fmac_f32_e32 v55, v21, v26
	v_fma_f32 v21, v42, v26, -v27
	s_delay_alu instid0(VALU_DEP_1) | instskip(SKIP_2) | instid1(VALU_DEP_1)
	v_sub_f32_e32 v21, v88, v21
	s_wait_loadcnt 0xa
	v_mul_f32_e32 v42, v71, v73
	v_fma_f32 v58, v70, v72, -v42
	s_wait_loadcnt 0x8
	v_mul_f32_e32 v59, v65, v75
	v_mad_co_u64_u32 v[1:2], null, s4, v92, v[0:1]
	v_mov_b32_e32 v2, v5
	s_delay_alu instid0(VALU_DEP_3) | instskip(SKIP_1) | instid1(VALU_DEP_4)
	v_dual_fmac_f32 v59, v66, v74 :: v_dual_add_nc_u32 v38, 48, v28
	v_mul_f32_e32 v42, v66, v75
	v_mad_co_u64_u32 v[16:17], null, s4, v28, v[0:1]
	v_mul_f32_e32 v17, v61, v63
	s_wait_loadcnt 0x4
	v_mul_f32_e32 v63, v13, v32
	v_mul_f32_e32 v61, v76, v79
	v_add_nc_u32_e32 v29, 48, v92
	v_add_nc_u32_e32 v36, 0x60, v92
	v_fma_f32 v54, v60, v62, -v17
	v_mul_f32_e32 v60, v77, v79
	v_fma_f32 v42, v65, v74, -v42
	v_mad_co_u64_u32 v[28:29], null, s4, v29, v[0:1]
	v_mad_co_u64_u32 v[36:37], null, s4, v36, v[0:1]
	v_lshlrev_b64_e32 v[1:2], 3, v[1:2]
	s_wait_dscnt 0x3
	v_mul_f32_e32 v62, v8, v35
	v_mul_f32_e32 v35, v11, v35
	s_wait_loadcnt 0x2
	v_dual_mul_f32 v65, v12, v32 :: v_dual_mul_f32 v32, v81, v83
	v_mul_f32_e32 v66, v80, v83
	v_mad_co_u64_u32 v[26:27], null, s4, v53, v[0:1]
	v_mul_f32_e32 v53, v70, v73
	v_dual_sub_f32 v55, v85, v55 :: v_dual_fmac_f32 v62, v11, v34
	v_fma_f32 v8, v8, v34, -v35
	s_wait_loadcnt 0x1
	v_mul_f32_e32 v11, v9, v25
	v_fmac_f32_e32 v53, v71, v72
	v_sub_f32_e32 v71, v20, v86
	s_wait_dscnt 0x1
	v_sub_f32_e32 v70, v56, v87
	v_mul_f32_e32 v34, v91, v23
	s_wait_loadcnt 0x0
	v_mul_f32_e32 v35, v7, v4
	v_fma_f32 v63, v12, v31, -v63
	v_dual_fmac_f32 v65, v13, v31 :: v_dual_mul_f32 v12, v67, v25
	v_dual_mul_f32 v13, v19, v23 :: v_dual_mul_f32 v4, v10, v4
	v_fma_f32 v31, v80, v82, -v32
	v_add_f32_e32 v25, v71, v21
	v_fma_f32 v32, v56, 2.0, -v70
	v_fma_f32 v21, v88, 2.0, -v21
	s_wait_dscnt 0x0
	v_dual_sub_f32 v23, v70, v55 :: v_dual_sub_f32 v56, v57, v64
	v_fma_f32 v20, v20, 2.0, -v71
	v_fma_f32 v55, v85, 2.0, -v55
	v_dual_sub_f32 v62, v89, v62 :: v_dual_fmac_f32 v35, v10, v3
	v_sub_f32_e32 v8, v30, v8
	v_fma_f32 v11, v67, v24, -v11
	v_fmac_f32_e32 v34, v19, v22
	v_fmac_f32_e32 v12, v9, v24
	v_fma_f32 v10, v91, v22, -v13
	v_fma_f32 v4, v7, v3, -v4
	v_mul_f32_e32 v3, v23, v69
	v_sub_f32_e32 v13, v32, v21
	v_dual_fmac_f32 v66, v82, v81 :: v_dual_sub_f32 v19, v20, v55
	v_mul_f32_e32 v7, v25, v69
	v_fma_f32 v21, v70, 2.0, -v23
	v_fma_f32 v22, v71, 2.0, -v25
	v_dual_sub_f32 v24, v56, v62 :: v_dual_add_f32 v55, v33, v8
	v_fma_f32 v57, v57, 2.0, -v56
	v_fma_f32 v8, v30, 2.0, -v8
	;; [unrolled: 1-line block ×4, first 2 shown]
	v_dual_sub_f32 v62, v68, v11 :: v_dual_fmac_f32 v3, v25, v84
	v_sub_f32_e32 v35, v34, v35
	v_sub_f32_e32 v64, v6, v12
	;; [unrolled: 1-line block ×3, first 2 shown]
	v_fma_f32 v32, v32, 2.0, -v13
	v_fma_f32 v4, v23, v84, -v7
	v_mul_f32_e32 v7, v13, v43
	v_mul_f32_e32 v23, v19, v43
	;; [unrolled: 1-line block ×4, first 2 shown]
	v_fma_f32 v43, v20, 2.0, -v19
	v_mul_f32_e32 v20, v55, v48
	v_fma_f32 v56, v56, 2.0, -v24
	v_sub_f32_e32 v67, v62, v35
	v_sub_f32_e32 v47, v57, v8
	v_dual_mul_f32 v11, v24, v48 :: v_dual_sub_f32 v48, v30, v18
	v_fma_f32 v68, v68, 2.0, -v62
	v_fma_f32 v70, v10, 2.0, -v12
	v_mul_f32_e32 v18, v32, v45
	v_fma_f32 v33, v33, 2.0, -v55
	v_add_f32_e32 v69, v64, v12
	v_fma_f32 v6, v6, 2.0, -v64
	v_fma_f32 v34, v34, 2.0, -v35
	v_fmac_f32_e32 v18, v43, v46
	v_fma_f32 v8, v13, v90, -v23
	v_fmac_f32_e32 v9, v22, v44
	v_fma_f32 v12, v24, v49, -v20
	v_mul_f32_e32 v22, v56, v52
	v_mul_f32_e32 v24, v67, v59
	;; [unrolled: 1-line block ×3, first 2 shown]
	v_sub_f32_e32 v35, v68, v70
	v_mov_b32_e32 v17, v5
	v_fma_f32 v10, v21, v44, -v25
	v_mul_f32_e32 v20, v47, v50
	v_fmac_f32_e32 v7, v19, v90
	v_fma_f32 v44, v57, 2.0, -v47
	v_mul_f32_e32 v23, v33, v52
	v_fma_f32 v52, v64, 2.0, -v69
	v_fmac_f32_e32 v24, v69, v42
	v_fma_f32 v19, v32, v46, -v13
	v_fma_f32 v46, v68, 2.0, -v35
	v_fmac_f32_e32 v11, v55, v49
	v_sub_f32_e32 v49, v6, v34
	v_mov_b32_e32 v29, v5
	v_lshlrev_b64_e32 v[16:17], 3, v[16:17]
	v_dual_mul_f32 v34, v46, v66 :: v_dual_mov_b32 v37, v5
	s_delay_alu instid0(VALU_DEP_4)
	v_fma_f32 v6, v6, 2.0, -v49
	v_mad_co_u64_u32 v[38:39], null, s4, v38, v[0:1]
	v_mad_co_u64_u32 v[40:41], null, s4, v40, v[0:1]
	v_lshlrev_b64_e32 v[28:29], 3, v[28:29]
	v_add_co_u32 v1, vcc_lo, s2, v1
	v_mov_b32_e32 v39, v5
	s_wait_alu 0xfffd
	v_add_co_ci_u32_e32 v2, vcc_lo, s3, v2, vcc_lo
	v_dual_fmac_f32 v61, v77, v78 :: v_dual_add_nc_u32 v14, 0x90, v92
	v_dual_fmac_f32 v34, v6, v31 :: v_dual_mul_f32 v21, v48, v50
	v_fma_f32 v50, v62, 2.0, -v67
	v_mul_f32_e32 v25, v69, v59
	v_lshlrev_b64_e32 v[36:37], 3, v[36:37]
	v_add_co_u32 v16, vcc_lo, s2, v16
	v_mov_b32_e32 v41, v5
	s_wait_alu 0xfffd
	v_add_co_ci_u32_e32 v17, vcc_lo, s3, v17, vcc_lo
	v_lshlrev_b64_e32 v[38:39], 3, v[38:39]
	v_add_co_u32 v28, vcc_lo, s2, v28
	v_mov_b32_e32 v27, v5
	v_fma_f32 v25, v67, v42, -v25
	v_mul_f32_e32 v42, v50, v65
	s_wait_alu 0xfffd
	v_add_co_ci_u32_e32 v29, vcc_lo, s3, v29, vcc_lo
	v_lshlrev_b64_e32 v[40:41], 3, v[40:41]
	v_add_co_u32 v36, vcc_lo, s2, v36
	s_wait_alu 0xfffd
	v_add_co_ci_u32_e32 v37, vcc_lo, s3, v37, vcc_lo
	v_fma_f32 v45, v30, 2.0, -v48
	v_lshlrev_b64_e32 v[26:27], 3, v[26:27]
	v_add_co_u32 v38, vcc_lo, s2, v38
	v_fma_f32 v60, v76, v78, -v60
	v_fmac_f32_e32 v22, v33, v54
	v_mul_f32_e32 v32, v35, v61
	v_fma_f32 v21, v47, v51, -v21
	v_dual_mul_f32 v47, v6, v66 :: v_dual_add_nc_u32 v6, 48, v93
	v_dual_fmac_f32 v42, v52, v63 :: v_dual_mul_f32 v33, v49, v61
	s_delay_alu instid0(VALU_DEP_4)
	v_dual_mul_f32 v43, v52, v65 :: v_dual_fmac_f32 v32, v49, v60
	s_wait_alu 0xfffd
	v_add_co_ci_u32_e32 v39, vcc_lo, s3, v39, vcc_lo
	v_mad_co_u64_u32 v[14:15], null, s4, v14, v[0:1]
	v_add_co_u32 v40, vcc_lo, s2, v40
	v_mul_f32_e32 v13, v45, v53
	v_mul_f32_e32 v30, v44, v53
	s_wait_alu 0xfffd
	v_add_co_ci_u32_e32 v41, vcc_lo, s3, v41, vcc_lo
	v_mov_b32_e32 v15, v5
	v_fma_f32 v33, v35, v60, -v33
	v_fma_f32 v35, v46, v31, -v47
	v_add_co_u32 v26, vcc_lo, s2, v26
	v_fma_f32 v43, v50, v63, -v43
	s_wait_alu 0xfffd
	v_add_co_ci_u32_e32 v27, vcc_lo, s3, v27, vcc_lo
	v_fma_f32 v31, v44, v58, -v13
	v_fmac_f32_e32 v30, v45, v58
	v_fmac_f32_e32 v20, v48, v51
	v_fma_f32 v23, v56, v54, -v23
	s_clause 0x6
	global_store_b64 v[16:17], v[34:35], off
	global_store_b64 v[38:39], v[42:43], off
	;; [unrolled: 1-line block ×7, first 2 shown]
	v_add_nc_u32_e32 v17, 0x90, v93
	v_lshlrev_b64_e32 v[1:2], 3, v[14:15]
	s_delay_alu instid0(VALU_DEP_1)
	v_mad_co_u64_u32 v[13:14], null, s4, v93, v[0:1]
	v_mad_co_u64_u32 v[15:16], null, s4, v6, v[0:1]
	v_add_co_u32 v1, vcc_lo, s2, v1
	v_add_nc_u32_e32 v6, 0x60, v93
	v_mov_b32_e32 v14, v5
	v_mov_b32_e32 v16, v5
	s_delay_alu instid0(VALU_DEP_4)
	v_mad_co_u64_u32 v[22:23], null, s4, v17, v[0:1]
	v_mov_b32_e32 v23, v5
	v_mad_co_u64_u32 v[20:21], null, s4, v6, v[0:1]
	v_mov_b32_e32 v21, v5
	v_lshlrev_b64_e32 v[13:14], 3, v[13:14]
	v_lshlrev_b64_e32 v[15:16], 3, v[15:16]
	s_wait_alu 0xfffd
	v_add_co_ci_u32_e32 v2, vcc_lo, s3, v2, vcc_lo
	v_lshlrev_b64_e32 v[20:21], 3, v[20:21]
	s_delay_alu instid0(VALU_DEP_4)
	v_add_co_u32 v13, vcc_lo, s2, v13
	s_wait_alu 0xfffd
	v_add_co_ci_u32_e32 v14, vcc_lo, s3, v14, vcc_lo
	v_add_co_u32 v5, vcc_lo, s2, v15
	s_wait_alu 0xfffd
	v_add_co_ci_u32_e32 v6, vcc_lo, s3, v16, vcc_lo
	v_lshlrev_b64_e32 v[15:16], 3, v[22:23]
	v_add_co_u32 v20, vcc_lo, s2, v20
	s_wait_alu 0xfffd
	v_add_co_ci_u32_e32 v21, vcc_lo, s3, v21, vcc_lo
	s_delay_alu instid0(VALU_DEP_3)
	v_add_co_u32 v15, vcc_lo, s2, v15
	s_wait_alu 0xfffd
	v_add_co_ci_u32_e32 v16, vcc_lo, s3, v16, vcc_lo
	s_clause 0x4
	global_store_b64 v[1:2], v[11:12], off
	global_store_b64 v[13:14], v[18:19], off
	;; [unrolled: 1-line block ×5, first 2 shown]
.LBB0_28:
	s_nop 0
	s_sendmsg sendmsg(MSG_DEALLOC_VGPRS)
	s_endpgm
	.section	.rodata,"a",@progbits
	.p2align	6, 0x0
	.amdhsa_kernel fft_rtc_back_len192_factors_4_4_3_4_wgs_256_tpt_16_halfLds_dim2_sp_ip_CI_sbcc_twdbase8_2step_dirReg_intrinsicReadWrite
		.amdhsa_group_segment_fixed_size 0
		.amdhsa_private_segment_fixed_size 0
		.amdhsa_kernarg_size 88
		.amdhsa_user_sgpr_count 2
		.amdhsa_user_sgpr_dispatch_ptr 0
		.amdhsa_user_sgpr_queue_ptr 0
		.amdhsa_user_sgpr_kernarg_segment_ptr 1
		.amdhsa_user_sgpr_dispatch_id 0
		.amdhsa_user_sgpr_private_segment_size 0
		.amdhsa_wavefront_size32 1
		.amdhsa_uses_dynamic_stack 0
		.amdhsa_enable_private_segment 0
		.amdhsa_system_sgpr_workgroup_id_x 1
		.amdhsa_system_sgpr_workgroup_id_y 0
		.amdhsa_system_sgpr_workgroup_id_z 0
		.amdhsa_system_sgpr_workgroup_info 0
		.amdhsa_system_vgpr_workitem_id 0
		.amdhsa_next_free_vgpr 94
		.amdhsa_next_free_sgpr 20
		.amdhsa_reserve_vcc 1
		.amdhsa_float_round_mode_32 0
		.amdhsa_float_round_mode_16_64 0
		.amdhsa_float_denorm_mode_32 3
		.amdhsa_float_denorm_mode_16_64 3
		.amdhsa_fp16_overflow 0
		.amdhsa_workgroup_processor_mode 1
		.amdhsa_memory_ordered 1
		.amdhsa_forward_progress 0
		.amdhsa_round_robin_scheduling 0
		.amdhsa_exception_fp_ieee_invalid_op 0
		.amdhsa_exception_fp_denorm_src 0
		.amdhsa_exception_fp_ieee_div_zero 0
		.amdhsa_exception_fp_ieee_overflow 0
		.amdhsa_exception_fp_ieee_underflow 0
		.amdhsa_exception_fp_ieee_inexact 0
		.amdhsa_exception_int_div_zero 0
	.end_amdhsa_kernel
	.text
.Lfunc_end0:
	.size	fft_rtc_back_len192_factors_4_4_3_4_wgs_256_tpt_16_halfLds_dim2_sp_ip_CI_sbcc_twdbase8_2step_dirReg_intrinsicReadWrite, .Lfunc_end0-fft_rtc_back_len192_factors_4_4_3_4_wgs_256_tpt_16_halfLds_dim2_sp_ip_CI_sbcc_twdbase8_2step_dirReg_intrinsicReadWrite
                                        ; -- End function
	.section	.AMDGPU.csdata,"",@progbits
; Kernel info:
; codeLenInByte = 7028
; NumSgprs: 22
; NumVgprs: 94
; ScratchSize: 0
; MemoryBound: 0
; FloatMode: 240
; IeeeMode: 1
; LDSByteSize: 0 bytes/workgroup (compile time only)
; SGPRBlocks: 2
; VGPRBlocks: 11
; NumSGPRsForWavesPerEU: 22
; NumVGPRsForWavesPerEU: 94
; Occupancy: 16
; WaveLimiterHint : 1
; COMPUTE_PGM_RSRC2:SCRATCH_EN: 0
; COMPUTE_PGM_RSRC2:USER_SGPR: 2
; COMPUTE_PGM_RSRC2:TRAP_HANDLER: 0
; COMPUTE_PGM_RSRC2:TGID_X_EN: 1
; COMPUTE_PGM_RSRC2:TGID_Y_EN: 0
; COMPUTE_PGM_RSRC2:TGID_Z_EN: 0
; COMPUTE_PGM_RSRC2:TIDIG_COMP_CNT: 0
	.text
	.p2alignl 7, 3214868480
	.fill 96, 4, 3214868480
	.type	__hip_cuid_10c1a3eb980b697,@object ; @__hip_cuid_10c1a3eb980b697
	.section	.bss,"aw",@nobits
	.globl	__hip_cuid_10c1a3eb980b697
__hip_cuid_10c1a3eb980b697:
	.byte	0                               ; 0x0
	.size	__hip_cuid_10c1a3eb980b697, 1

	.ident	"AMD clang version 19.0.0git (https://github.com/RadeonOpenCompute/llvm-project roc-6.4.0 25133 c7fe45cf4b819c5991fe208aaa96edf142730f1d)"
	.section	".note.GNU-stack","",@progbits
	.addrsig
	.addrsig_sym __hip_cuid_10c1a3eb980b697
	.amdgpu_metadata
---
amdhsa.kernels:
  - .args:
      - .actual_access:  read_only
        .address_space:  global
        .offset:         0
        .size:           8
        .value_kind:     global_buffer
      - .address_space:  global
        .offset:         8
        .size:           8
        .value_kind:     global_buffer
      - .actual_access:  read_only
        .address_space:  global
        .offset:         16
        .size:           8
        .value_kind:     global_buffer
      - .actual_access:  read_only
        .address_space:  global
        .offset:         24
        .size:           8
        .value_kind:     global_buffer
      - .offset:         32
        .size:           8
        .value_kind:     by_value
      - .actual_access:  read_only
        .address_space:  global
        .offset:         40
        .size:           8
        .value_kind:     global_buffer
      - .actual_access:  read_only
        .address_space:  global
        .offset:         48
        .size:           8
        .value_kind:     global_buffer
      - .offset:         56
        .size:           4
        .value_kind:     by_value
      - .actual_access:  read_only
        .address_space:  global
        .offset:         64
        .size:           8
        .value_kind:     global_buffer
      - .actual_access:  read_only
        .address_space:  global
        .offset:         72
        .size:           8
        .value_kind:     global_buffer
      - .address_space:  global
        .offset:         80
        .size:           8
        .value_kind:     global_buffer
    .group_segment_fixed_size: 0
    .kernarg_segment_align: 8
    .kernarg_segment_size: 88
    .language:       OpenCL C
    .language_version:
      - 2
      - 0
    .max_flat_workgroup_size: 256
    .name:           fft_rtc_back_len192_factors_4_4_3_4_wgs_256_tpt_16_halfLds_dim2_sp_ip_CI_sbcc_twdbase8_2step_dirReg_intrinsicReadWrite
    .private_segment_fixed_size: 0
    .sgpr_count:     22
    .sgpr_spill_count: 0
    .symbol:         fft_rtc_back_len192_factors_4_4_3_4_wgs_256_tpt_16_halfLds_dim2_sp_ip_CI_sbcc_twdbase8_2step_dirReg_intrinsicReadWrite.kd
    .uniform_work_group_size: 1
    .uses_dynamic_stack: false
    .vgpr_count:     94
    .vgpr_spill_count: 0
    .wavefront_size: 32
    .workgroup_processor_mode: 1
amdhsa.target:   amdgcn-amd-amdhsa--gfx1201
amdhsa.version:
  - 1
  - 2
...

	.end_amdgpu_metadata
